;; amdgpu-corpus repo=ROCm/rocFFT kind=compiled arch=gfx1100 opt=O3
	.text
	.amdgcn_target "amdgcn-amd-amdhsa--gfx1100"
	.amdhsa_code_object_version 6
	.protected	bluestein_single_fwd_len1125_dim1_dp_op_CI_CI ; -- Begin function bluestein_single_fwd_len1125_dim1_dp_op_CI_CI
	.globl	bluestein_single_fwd_len1125_dim1_dp_op_CI_CI
	.p2align	8
	.type	bluestein_single_fwd_len1125_dim1_dp_op_CI_CI,@function
bluestein_single_fwd_len1125_dim1_dp_op_CI_CI: ; @bluestein_single_fwd_len1125_dim1_dp_op_CI_CI
; %bb.0:
	s_load_b128 s[16:19], s[0:1], 0x28
	v_mul_u32_u24_e32 v1, 0x124, v0
	s_mov_b32 s2, exec_lo
	v_mov_b32_e32 v93, 0
	s_delay_alu instid0(VALU_DEP_2) | instskip(NEXT) | instid1(VALU_DEP_1)
	v_lshrrev_b32_e32 v1, 16, v1
	v_add_nc_u32_e32 v92, s15, v1
	s_waitcnt lgkmcnt(0)
	s_delay_alu instid0(VALU_DEP_1)
	v_cmpx_gt_u64_e64 s[16:17], v[92:93]
	s_cbranch_execz .LBB0_18
; %bb.1:
	s_clause 0x1
	s_load_b128 s[4:7], s[0:1], 0x18
	s_load_b128 s[8:11], s[0:1], 0x0
	v_mul_lo_u16 v1, 0xe1, v1
	s_mov_b32 s16, 0x372fe950
	s_mov_b32 s17, 0x3fd3c6ef
	s_delay_alu instid0(VALU_DEP_1)
	v_sub_nc_u16 v36, v0, v1
	s_waitcnt lgkmcnt(0)
	s_load_b128 s[12:15], s[4:5], 0x0
	s_waitcnt lgkmcnt(0)
	v_mad_u64_u32 v[8:9], null, s14, v92, 0
	v_and_b32_e32 v93, 0xffff, v36
	s_mul_hi_u32 s3, s12, 0xe10
	s_mul_i32 s4, s12, 0xe10
	s_delay_alu instid0(VALU_DEP_2) | instskip(NEXT) | instid1(VALU_DEP_2)
	v_mov_b32_e32 v0, v9
	v_mad_u64_u32 v[10:11], null, s12, v93, 0
	s_delay_alu instid0(VALU_DEP_1) | instskip(NEXT) | instid1(VALU_DEP_1)
	v_dual_mov_b32 v1, v11 :: v_dual_lshlrev_b32 v94, 4, v93
	v_add_co_u32 v96, s2, s8, v94
	s_delay_alu instid0(VALU_DEP_1) | instskip(NEXT) | instid1(VALU_DEP_3)
	v_add_co_ci_u32_e64 v95, null, s9, 0, s2
	v_mad_u64_u32 v[11:12], null, s15, v92, v[0:1]
	v_mad_u64_u32 v[12:13], null, s13, v93, v[1:2]
	s_delay_alu instid0(VALU_DEP_4) | instskip(NEXT) | instid1(VALU_DEP_4)
	v_add_co_u32 v13, vcc_lo, 0x1000, v96
	v_add_co_ci_u32_e32 v14, vcc_lo, 0, v95, vcc_lo
	s_delay_alu instid0(VALU_DEP_4) | instskip(SKIP_3) | instid1(VALU_DEP_4)
	v_mov_b32_e32 v9, v11
	v_add_co_u32 v15, vcc_lo, 0x2000, v96
	v_mov_b32_e32 v11, v12
	v_add_co_ci_u32_e32 v16, vcc_lo, 0, v95, vcc_lo
	v_lshlrev_b64 v[8:9], 4, v[8:9]
	s_mul_i32 s2, s13, 0xe10
	s_delay_alu instid0(VALU_DEP_3)
	v_lshlrev_b64 v[10:11], 4, v[10:11]
	s_add_i32 s3, s3, s2
	s_clause 0x1
	global_load_b128 v[0:3], v94, s[8:9]
	global_load_b128 v[4:7], v94, s[8:9] offset:3600
	s_mov_b32 s9, 0xbfee6f0e
	v_add_co_u32 v8, vcc_lo, s18, v8
	v_add_co_ci_u32_e32 v9, vcc_lo, s19, v9, vcc_lo
	s_mov_b32 s12, 0x4755a5e
	s_delay_alu instid0(VALU_DEP_2) | instskip(NEXT) | instid1(VALU_DEP_2)
	v_add_co_u32 v17, vcc_lo, v8, v10
	v_add_co_ci_u32_e32 v18, vcc_lo, v9, v11, vcc_lo
	global_load_b128 v[8:11], v[13:14], off offset:3104
	v_add_co_u32 v24, vcc_lo, v17, s4
	v_add_co_ci_u32_e32 v25, vcc_lo, s3, v18, vcc_lo
	v_add_co_u32 v37, vcc_lo, 0x3000, v96
	v_add_co_ci_u32_e32 v38, vcc_lo, 0, v95, vcc_lo
	s_delay_alu instid0(VALU_DEP_4) | instskip(NEXT) | instid1(VALU_DEP_4)
	v_add_co_u32 v28, vcc_lo, v24, s4
	v_add_co_ci_u32_e32 v29, vcc_lo, s3, v25, vcc_lo
	s_clause 0x1
	global_load_b128 v[20:23], v[17:18], off
	global_load_b128 v[24:27], v[24:25], off
	v_add_co_u32 v32, vcc_lo, v28, s4
	v_add_co_ci_u32_e32 v33, vcc_lo, s3, v29, vcc_lo
	s_mov_b32 s13, 0x3fe2cf23
	s_delay_alu instid0(VALU_DEP_2) | instskip(NEXT) | instid1(VALU_DEP_2)
	v_add_co_u32 v39, vcc_lo, v32, s4
	v_add_co_ci_u32_e32 v40, vcc_lo, s3, v33, vcc_lo
	global_load_b128 v[28:31], v[28:29], off
	global_load_b128 v[12:15], v[15:16], off offset:2608
	global_load_b128 v[32:35], v[32:33], off
	global_load_b128 v[16:19], v[37:38], off offset:2112
	global_load_b128 v[37:40], v[39:40], off
	s_load_b128 s[4:7], s[6:7], 0x0
	s_mov_b32 s2, 0x134454ff
	s_mov_b32 s3, 0x3fee6f0e
	;; [unrolled: 1-line block ×5, first 2 shown]
	v_cmp_gt_u16_e32 vcc_lo, 0x96, v36
	s_waitcnt vmcnt(6)
	v_mul_f64 v[41:42], v[22:23], v[2:3]
	v_mul_f64 v[43:44], v[20:21], v[2:3]
	s_waitcnt vmcnt(5)
	v_mul_f64 v[45:46], v[26:27], v[6:7]
	v_mul_f64 v[47:48], v[24:25], v[6:7]
	;; [unrolled: 3-line block ×5, first 2 shown]
	v_fma_f64 v[20:21], v[20:21], v[0:1], v[41:42]
	v_fma_f64 v[22:23], v[22:23], v[0:1], -v[43:44]
	v_fma_f64 v[24:25], v[24:25], v[4:5], v[45:46]
	v_fma_f64 v[26:27], v[26:27], v[4:5], -v[47:48]
	;; [unrolled: 2-line block ×5, first 2 shown]
	ds_store_b128 v94, v[20:23]
	ds_store_b128 v94, v[24:27] offset:3600
	ds_store_b128 v94, v[28:31] offset:7200
	;; [unrolled: 1-line block ×4, first 2 shown]
	s_waitcnt lgkmcnt(0)
	s_barrier
	buffer_gl0_inv
	ds_load_b128 v[20:23], v94 offset:7200
	ds_load_b128 v[24:27], v94 offset:10800
	;; [unrolled: 1-line block ×4, first 2 shown]
	ds_load_b128 v[37:40], v94
	s_waitcnt lgkmcnt(0)
	s_barrier
	buffer_gl0_inv
	v_add_f64 v[41:42], v[20:21], v[24:25]
	v_add_f64 v[45:46], v[22:23], v[26:27]
	;; [unrolled: 1-line block ×6, first 2 shown]
	v_add_f64 v[51:52], v[34:35], -v[30:31]
	v_add_f64 v[57:58], v[32:33], -v[28:29]
	;; [unrolled: 1-line block ×9, first 2 shown]
	v_fma_f64 v[41:42], v[41:42], -0.5, v[37:38]
	v_fma_f64 v[45:46], v[45:46], -0.5, v[39:40]
	;; [unrolled: 1-line block ×3, first 2 shown]
	v_add_f64 v[43:44], v[20:21], -v[24:25]
	v_fma_f64 v[39:40], v[47:48], -0.5, v[39:40]
	v_add_f64 v[47:48], v[32:33], -v[20:21]
	v_add_f64 v[32:33], v[20:21], -v[32:33]
	v_add_f64 v[20:21], v[49:50], v[20:21]
	v_add_f64 v[22:23], v[55:56], v[22:23]
	v_fma_f64 v[49:50], v[51:52], s[2:3], v[41:42]
	v_fma_f64 v[41:42], v[51:52], s[8:9], v[41:42]
	;; [unrolled: 1-line block ×8, first 2 shown]
	v_add_f64 v[20:21], v[20:21], v[24:25]
	v_add_f64 v[22:23], v[22:23], v[26:27]
	;; [unrolled: 1-line block ×6, first 2 shown]
	v_fma_f64 v[24:25], v[53:54], s[12:13], v[49:50]
	v_fma_f64 v[26:27], v[53:54], s[14:15], v[41:42]
	;; [unrolled: 1-line block ×8, first 2 shown]
	v_add_f64 v[20:21], v[20:21], v[28:29]
	v_add_f64 v[22:23], v[22:23], v[30:31]
	v_and_b32_e32 v45, 0xff, v36
	v_fma_f64 v[24:25], v[47:48], s[16:17], v[24:25]
	v_fma_f64 v[28:29], v[47:48], s[16:17], v[26:27]
	;; [unrolled: 1-line block ×8, first 2 shown]
	v_mul_lo_u16 v41, 0xcd, v45
	v_mul_lo_u16 v42, v36, 5
	s_delay_alu instid0(VALU_DEP_2) | instskip(NEXT) | instid1(VALU_DEP_2)
	v_lshrrev_b16 v89, 10, v41
	v_and_b32_e32 v42, 0xffff, v42
	s_delay_alu instid0(VALU_DEP_2) | instskip(NEXT) | instid1(VALU_DEP_2)
	v_mul_lo_u16 v41, v89, 5
	v_lshlrev_b32_e32 v99, 4, v42
	ds_store_b128 v99, v[20:23]
	ds_store_b128 v99, v[24:27] offset:16
	ds_store_b128 v99, v[32:35] offset:32
	;; [unrolled: 1-line block ×4, first 2 shown]
	v_sub_nc_u16 v41, v36, v41
	s_waitcnt lgkmcnt(0)
	s_barrier
	buffer_gl0_inv
	v_and_b32_e32 v90, 0xff, v41
	s_delay_alu instid0(VALU_DEP_1)
	v_lshlrev_b32_e32 v41, 6, v90
	s_clause 0x3
	global_load_b128 v[32:35], v41, s[10:11]
	global_load_b128 v[28:31], v41, s[10:11] offset:16
	global_load_b128 v[24:27], v41, s[10:11] offset:32
	;; [unrolled: 1-line block ×3, first 2 shown]
	ds_load_b128 v[37:40], v94 offset:3600
	ds_load_b128 v[41:44], v94 offset:7200
	;; [unrolled: 1-line block ×4, first 2 shown]
	ds_load_b128 v[53:56], v94
	s_waitcnt vmcnt(0) lgkmcnt(0)
	s_barrier
	buffer_gl0_inv
	v_mul_f64 v[57:58], v[39:40], v[34:35]
	v_mul_f64 v[59:60], v[43:44], v[30:31]
	;; [unrolled: 1-line block ×8, first 2 shown]
	v_fma_f64 v[37:38], v[37:38], v[32:33], -v[57:58]
	v_fma_f64 v[41:42], v[41:42], v[28:29], -v[59:60]
	;; [unrolled: 1-line block ×3, first 2 shown]
	v_fma_f64 v[43:44], v[43:44], v[28:29], v[67:68]
	v_fma_f64 v[47:48], v[47:48], v[24:25], v[69:70]
	;; [unrolled: 1-line block ×3, first 2 shown]
	v_fma_f64 v[49:50], v[49:50], v[20:21], -v[65:66]
	v_fma_f64 v[51:52], v[51:52], v[20:21], v[71:72]
	v_add_f64 v[65:66], v[53:54], v[37:38]
	v_add_f64 v[57:58], v[41:42], v[45:46]
	;; [unrolled: 1-line block ×6, first 2 shown]
	v_add_f64 v[67:68], v[39:40], -v[51:52]
	v_add_f64 v[73:74], v[37:38], -v[49:50]
	;; [unrolled: 1-line block ×9, first 2 shown]
	v_fma_f64 v[57:58], v[57:58], -0.5, v[53:54]
	v_fma_f64 v[61:62], v[61:62], -0.5, v[55:56]
	v_add_f64 v[43:44], v[69:70], v[43:44]
	v_fma_f64 v[53:54], v[59:60], -0.5, v[53:54]
	v_add_f64 v[59:60], v[41:42], -v[45:46]
	v_fma_f64 v[55:56], v[63:64], -0.5, v[55:56]
	v_add_f64 v[63:64], v[37:38], -v[41:42]
	v_add_f64 v[37:38], v[41:42], -v[37:38]
	v_add_f64 v[41:42], v[65:66], v[41:42]
	v_fma_f64 v[65:66], v[67:68], s[2:3], v[57:58]
	v_fma_f64 v[57:58], v[67:68], s[8:9], v[57:58]
	;; [unrolled: 1-line block ×8, first 2 shown]
	v_add_f64 v[63:64], v[63:64], v[75:76]
	v_add_f64 v[75:76], v[37:38], v[77:78]
	;; [unrolled: 1-line block ×6, first 2 shown]
	s_load_b64 s[8:9], s[0:1], 0x38
	v_fma_f64 v[41:42], v[71:72], s[12:13], v[65:66]
	v_fma_f64 v[43:44], v[71:72], s[14:15], v[57:58]
	;; [unrolled: 1-line block ×8, first 2 shown]
                                        ; implicit-def: $vgpr72_vgpr73
	v_add_f64 v[37:38], v[37:38], v[49:50]
	v_add_f64 v[39:40], v[39:40], v[51:52]
	v_and_b32_e32 v49, 0xffff, v89
	s_delay_alu instid0(VALU_DEP_1) | instskip(NEXT) | instid1(VALU_DEP_1)
	v_mul_u32_u24_e32 v49, 25, v49
	v_add_lshl_u32 v100, v49, v90, 4
	v_fma_f64 v[41:42], v[63:64], s[16:17], v[41:42]
	v_fma_f64 v[60:61], v[63:64], s[16:17], v[43:44]
	;; [unrolled: 1-line block ×8, first 2 shown]
	ds_store_b128 v100, v[37:40]
	ds_store_b128 v100, v[41:44] offset:80
	ds_store_b128 v100, v[45:48] offset:160
	;; [unrolled: 1-line block ×4, first 2 shown]
	s_waitcnt lgkmcnt(0)
	s_barrier
	buffer_gl0_inv
	ds_load_b128 v[56:59], v94
	ds_load_b128 v[64:67], v94 offset:6000
	ds_load_b128 v[68:71], v94 offset:12000
	s_and_saveexec_b32 s0, vcc_lo
	s_cbranch_execz .LBB0_3
; %bb.2:
	ds_load_b128 v[52:55], v94 offset:3600
	ds_load_b128 v[60:63], v94 offset:9600
	;; [unrolled: 1-line block ×3, first 2 shown]
.LBB0_3:
	s_or_b32 exec_lo, exec_lo, s0
	v_add_nc_u16 v102, v93, 0xe1
	v_and_b32_e32 v103, 0xff, v93
	s_mov_b32 s3, 0xbfebb67a
	s_delay_alu instid0(VALU_DEP_2) | instskip(NEXT) | instid1(VALU_DEP_1)
	v_and_b32_e32 v104, 0xffff, v102
	v_mul_u32_u24_e32 v36, 0x47af, v104
	s_delay_alu instid0(VALU_DEP_1) | instskip(NEXT) | instid1(VALU_DEP_1)
	v_lshrrev_b32_e32 v36, 16, v36
	v_sub_nc_u16 v37, v102, v36
	s_delay_alu instid0(VALU_DEP_1) | instskip(NEXT) | instid1(VALU_DEP_1)
	v_lshrrev_b16 v37, 1, v37
	v_add_nc_u16 v36, v37, v36
	v_mul_lo_u16 v37, v103, 41
	s_delay_alu instid0(VALU_DEP_2) | instskip(NEXT) | instid1(VALU_DEP_2)
	v_lshrrev_b16 v97, 4, v36
	v_lshrrev_b16 v101, 10, v37
	s_delay_alu instid0(VALU_DEP_2) | instskip(NEXT) | instid1(VALU_DEP_2)
	v_mul_lo_u16 v36, v97, 25
	v_mul_lo_u16 v37, v101, 25
	s_delay_alu instid0(VALU_DEP_2) | instskip(NEXT) | instid1(VALU_DEP_2)
	v_sub_nc_u16 v98, v102, v36
	v_sub_nc_u16 v36, v93, v37
	s_delay_alu instid0(VALU_DEP_2) | instskip(NEXT) | instid1(VALU_DEP_2)
	v_lshlrev_b16 v37, 5, v98
	v_and_b32_e32 v109, 0xff, v36
	s_delay_alu instid0(VALU_DEP_2) | instskip(NEXT) | instid1(VALU_DEP_2)
	v_and_b32_e32 v36, 0xffff, v37
	v_lshlrev_b32_e32 v37, 5, v109
	s_delay_alu instid0(VALU_DEP_2) | instskip(NEXT) | instid1(VALU_DEP_1)
	v_add_co_u32 v44, s0, s10, v36
	v_add_co_ci_u32_e64 v45, null, s11, 0, s0
	s_mov_b32 s0, 0xe8584caa
	s_clause 0x3
	global_load_b128 v[40:43], v37, s[10:11] offset:320
	global_load_b128 v[36:39], v37, s[10:11] offset:336
	global_load_b128 v[48:51], v[44:45], off offset:320
	global_load_b128 v[44:47], v[44:45], off offset:336
	s_mov_b32 s1, 0x3febb67a
	s_mov_b32 s2, s0
	s_waitcnt vmcnt(0) lgkmcnt(0)
	s_barrier
	buffer_gl0_inv
	v_mul_f64 v[76:77], v[66:67], v[42:43]
	v_mul_f64 v[78:79], v[70:71], v[38:39]
	;; [unrolled: 1-line block ×8, first 2 shown]
	v_fma_f64 v[64:65], v[64:65], v[40:41], -v[76:77]
	v_fma_f64 v[68:69], v[68:69], v[36:37], -v[78:79]
	;; [unrolled: 1-line block ×4, first 2 shown]
	v_fma_f64 v[62:63], v[62:63], v[48:49], v[88:89]
	v_fma_f64 v[74:75], v[74:75], v[44:45], v[90:91]
	;; [unrolled: 1-line block ×4, first 2 shown]
	v_add_f64 v[84:85], v[56:57], v[64:65]
	v_add_f64 v[76:77], v[64:65], v[68:69]
	;; [unrolled: 1-line block ×6, first 2 shown]
	v_add_f64 v[105:106], v[62:63], -v[74:75]
	v_add_f64 v[78:79], v[66:67], v[70:71]
	v_add_f64 v[86:87], v[66:67], -v[70:71]
	v_add_f64 v[66:67], v[58:59], v[66:67]
	v_add_f64 v[107:108], v[60:61], -v[72:73]
	v_add_f64 v[64:65], v[64:65], -v[68:69]
	v_fma_f64 v[76:77], v[76:77], -0.5, v[56:57]
	v_fma_f64 v[80:81], v[80:81], -0.5, v[52:53]
	v_add_f64 v[52:53], v[84:85], v[68:69]
	v_fma_f64 v[82:83], v[82:83], -0.5, v[54:55]
	v_add_f64 v[68:69], v[88:89], v[72:73]
	;; [unrolled: 2-line block ×3, first 2 shown]
	v_add_f64 v[70:71], v[90:91], v[74:75]
	v_fma_f64 v[56:57], v[86:87], s[0:1], v[76:77]
	v_fma_f64 v[60:61], v[86:87], s[2:3], v[76:77]
	;; [unrolled: 1-line block ×8, first 2 shown]
	v_and_b32_e32 v64, 0xffff, v101
	s_delay_alu instid0(VALU_DEP_1) | instskip(NEXT) | instid1(VALU_DEP_1)
	v_mul_u32_u24_e32 v64, 0x4b, v64
	v_add_lshl_u32 v101, v64, v109, 4
	ds_store_b128 v101, v[52:55]
	ds_store_b128 v101, v[56:59] offset:400
	ds_store_b128 v101, v[60:63] offset:800
	s_and_saveexec_b32 s0, vcc_lo
	s_cbranch_execz .LBB0_5
; %bb.4:
	v_mad_u16 v52, 0x4b, v97, v98
	s_delay_alu instid0(VALU_DEP_1) | instskip(NEXT) | instid1(VALU_DEP_1)
	v_and_b32_e32 v52, 0xffff, v52
	v_lshlrev_b32_e32 v52, 4, v52
	ds_store_b128 v52, v[68:71]
	ds_store_b128 v52, v[72:75] offset:400
	ds_store_b128 v52, v[80:83] offset:800
.LBB0_5:
	s_or_b32 exec_lo, exec_lo, s0
	s_waitcnt lgkmcnt(0)
	s_barrier
	buffer_gl0_inv
	ds_load_b128 v[76:79], v94
	ds_load_b128 v[88:91], v94 offset:6000
	ds_load_b128 v[84:87], v94 offset:12000
	s_and_saveexec_b32 s0, vcc_lo
	s_cbranch_execz .LBB0_7
; %bb.6:
	ds_load_b128 v[68:71], v94 offset:3600
	ds_load_b128 v[72:75], v94 offset:9600
	;; [unrolled: 1-line block ×3, first 2 shown]
.LBB0_7:
	s_or_b32 exec_lo, exec_lo, s0
	v_mul_u32_u24_e32 v52, 0xb4e9, v104
	s_delay_alu instid0(VALU_DEP_1) | instskip(NEXT) | instid1(VALU_DEP_1)
	v_lshrrev_b32_e32 v52, 16, v52
	v_sub_nc_u16 v53, v102, v52
	s_delay_alu instid0(VALU_DEP_1) | instskip(NEXT) | instid1(VALU_DEP_1)
	v_lshrrev_b16 v53, 1, v53
	v_add_nc_u16 v52, v53, v52
	v_mul_lo_u16 v53, 0xdb, v103
	s_delay_alu instid0(VALU_DEP_2) | instskip(NEXT) | instid1(VALU_DEP_2)
	v_lshrrev_b16 v120, 6, v52
	v_lshrrev_b16 v121, 14, v53
	s_delay_alu instid0(VALU_DEP_2) | instskip(NEXT) | instid1(VALU_DEP_2)
	v_mul_lo_u16 v52, 0x4b, v120
	v_mul_lo_u16 v53, 0x4b, v121
	s_delay_alu instid0(VALU_DEP_2) | instskip(NEXT) | instid1(VALU_DEP_2)
	v_sub_nc_u16 v122, v102, v52
	v_sub_nc_u16 v52, v93, v53
	s_delay_alu instid0(VALU_DEP_2) | instskip(NEXT) | instid1(VALU_DEP_2)
	v_lshlrev_b16 v53, 5, v122
	v_and_b32_e32 v123, 0xff, v52
	s_delay_alu instid0(VALU_DEP_2) | instskip(NEXT) | instid1(VALU_DEP_2)
	v_and_b32_e32 v52, 0xffff, v53
	v_lshlrev_b32_e32 v54, 5, v123
	s_delay_alu instid0(VALU_DEP_2) | instskip(NEXT) | instid1(VALU_DEP_1)
	v_add_co_u32 v52, s0, s10, v52
	v_add_co_ci_u32_e64 v53, null, s11, 0, s0
	s_mov_b32 s0, 0xe8584caa
	s_clause 0x3
	global_load_b128 v[64:67], v54, s[10:11] offset:1120
	global_load_b128 v[60:63], v54, s[10:11] offset:1136
	global_load_b128 v[56:59], v[52:53], off offset:1120
	global_load_b128 v[52:55], v[52:53], off offset:1136
	s_mov_b32 s1, 0x3febb67a
	s_mov_b32 s2, s0
	s_waitcnt vmcnt(0) lgkmcnt(0)
	s_barrier
	buffer_gl0_inv
	v_mul_f64 v[102:103], v[90:91], v[66:67]
	v_mul_f64 v[104:105], v[88:89], v[66:67]
	;; [unrolled: 1-line block ×8, first 2 shown]
	v_fma_f64 v[102:103], v[88:89], v[64:65], -v[102:103]
	v_fma_f64 v[104:105], v[90:91], v[64:65], v[104:105]
	v_fma_f64 v[84:85], v[84:85], v[60:61], -v[106:107]
	v_fma_f64 v[86:87], v[86:87], v[60:61], v[108:109]
	;; [unrolled: 2-line block ×4, first 2 shown]
	v_add_f64 v[110:111], v[76:77], v[102:103]
	v_add_f64 v[114:115], v[78:79], v[104:105]
	v_add_f64 v[80:81], v[102:103], v[84:85]
	v_add_f64 v[82:83], v[104:105], v[86:87]
	v_add_f64 v[112:113], v[104:105], -v[86:87]
	v_add_f64 v[102:103], v[102:103], -v[84:85]
	v_add_f64 v[106:107], v[88:89], v[72:73]
	v_add_f64 v[108:109], v[90:91], v[74:75]
	;; [unrolled: 1-line block ×3, first 2 shown]
	v_fma_f64 v[116:117], v[80:81], -0.5, v[76:77]
	v_add_f64 v[80:81], v[90:91], -v[74:75]
	v_fma_f64 v[118:119], v[82:83], -0.5, v[78:79]
	v_add_f64 v[82:83], v[88:89], -v[72:73]
	v_fma_f64 v[76:77], v[106:107], -0.5, v[68:69]
	v_fma_f64 v[78:79], v[108:109], -0.5, v[70:71]
	v_add_f64 v[106:107], v[114:115], v[86:87]
	v_fma_f64 v[108:109], v[112:113], s[0:1], v[116:117]
	v_fma_f64 v[112:113], v[112:113], s[2:3], v[116:117]
	;; [unrolled: 1-line block ×6, first 2 shown]
	v_and_b32_e32 v102, 0xffff, v121
	s_delay_alu instid0(VALU_DEP_1) | instskip(NEXT) | instid1(VALU_DEP_1)
	v_mul_u32_u24_e32 v102, 0xe1, v102
	v_add_lshl_u32 v103, v102, v123, 4
	v_mad_u16 v102, 0xe1, v120, v122
	ds_store_b128 v103, v[104:107]
	ds_store_b128 v103, v[108:111] offset:1200
	ds_store_b128 v103, v[112:115] offset:2400
	s_and_saveexec_b32 s2, vcc_lo
	s_cbranch_execz .LBB0_9
; %bb.8:
	v_add_f64 v[90:91], v[70:71], v[90:91]
	v_add_f64 v[68:69], v[68:69], v[88:89]
	v_mul_f64 v[82:83], v[82:83], s[0:1]
	v_mul_f64 v[80:81], v[80:81], s[0:1]
	s_delay_alu instid0(VALU_DEP_4) | instskip(NEXT) | instid1(VALU_DEP_4)
	v_add_f64 v[74:75], v[90:91], v[74:75]
	v_add_f64 v[72:73], v[68:69], v[72:73]
	s_delay_alu instid0(VALU_DEP_4) | instskip(NEXT) | instid1(VALU_DEP_4)
	v_add_f64 v[70:71], v[78:79], -v[82:83]
	v_add_f64 v[68:69], v[80:81], v[76:77]
	v_and_b32_e32 v76, 0xffff, v102
	s_delay_alu instid0(VALU_DEP_1)
	v_lshlrev_b32_e32 v76, 4, v76
	ds_store_b128 v76, v[72:75]
	ds_store_b128 v76, v[68:71] offset:1200
	ds_store_b128 v76, v[84:87] offset:2400
.LBB0_9:
	s_or_b32 exec_lo, exec_lo, s2
	v_lshlrev_b32_e32 v68, 6, v93
	s_waitcnt lgkmcnt(0)
	s_barrier
	buffer_gl0_inv
	s_mov_b32 s13, 0xbfee6f0e
	s_clause 0x3
	global_load_b128 v[80:83], v68, s[10:11] offset:3520
	global_load_b128 v[76:79], v68, s[10:11] offset:3536
	;; [unrolled: 1-line block ×4, first 2 shown]
	ds_load_b128 v[88:91], v94 offset:3600
	ds_load_b128 v[104:107], v94 offset:7200
	;; [unrolled: 1-line block ×4, first 2 shown]
	s_mov_b32 s10, 0x134454ff
	s_mov_b32 s11, 0x3fee6f0e
	;; [unrolled: 1-line block ×8, first 2 shown]
	s_waitcnt vmcnt(3) lgkmcnt(3)
	v_mul_f64 v[116:117], v[90:91], v[82:83]
	s_waitcnt vmcnt(2) lgkmcnt(2)
	v_mul_f64 v[118:119], v[106:107], v[78:79]
	;; [unrolled: 2-line block ×4, first 2 shown]
	v_mul_f64 v[126:127], v[104:105], v[78:79]
	v_mul_f64 v[128:129], v[108:109], v[74:75]
	;; [unrolled: 1-line block ×4, first 2 shown]
	v_fma_f64 v[116:117], v[88:89], v[80:81], -v[116:117]
	v_fma_f64 v[104:105], v[104:105], v[76:77], -v[118:119]
	;; [unrolled: 1-line block ×4, first 2 shown]
	v_fma_f64 v[106:107], v[106:107], v[76:77], v[126:127]
	v_fma_f64 v[110:111], v[110:111], v[72:73], v[128:129]
	;; [unrolled: 1-line block ×4, first 2 shown]
	ds_load_b128 v[88:91], v94
	s_waitcnt lgkmcnt(0)
	v_add_f64 v[128:129], v[88:89], v[116:117]
	v_add_f64 v[120:121], v[104:105], v[108:109]
	;; [unrolled: 1-line block ×3, first 2 shown]
	v_add_f64 v[136:137], v[116:117], -v[112:113]
	v_add_f64 v[124:125], v[106:107], v[110:111]
	v_add_f64 v[134:135], v[90:91], v[118:119]
	;; [unrolled: 1-line block ×3, first 2 shown]
	v_add_f64 v[130:131], v[118:119], -v[114:115]
	v_add_f64 v[132:133], v[106:107], -v[110:111]
	;; [unrolled: 1-line block ×8, first 2 shown]
	v_fma_f64 v[120:121], v[120:121], -0.5, v[88:89]
	v_fma_f64 v[88:89], v[122:123], -0.5, v[88:89]
	v_add_f64 v[122:123], v[104:105], -v[108:109]
	v_fma_f64 v[124:125], v[124:125], -0.5, v[90:91]
	v_add_f64 v[106:107], v[134:135], v[106:107]
	v_fma_f64 v[90:91], v[126:127], -0.5, v[90:91]
	v_add_f64 v[126:127], v[116:117], -v[104:105]
	v_add_f64 v[116:117], v[104:105], -v[116:117]
	v_add_f64 v[104:105], v[128:129], v[104:105]
	v_add_f64 v[118:119], v[118:119], v[146:147]
	v_fma_f64 v[128:129], v[130:131], s[10:11], v[120:121]
	v_fma_f64 v[120:121], v[130:131], s[12:13], v[120:121]
	;; [unrolled: 1-line block ×8, first 2 shown]
	v_add_f64 v[104:105], v[104:105], v[108:109]
	v_add_f64 v[106:107], v[106:107], v[110:111]
	;; [unrolled: 1-line block ×5, first 2 shown]
	v_fma_f64 v[108:109], v[132:133], s[16:17], v[128:129]
	v_fma_f64 v[110:111], v[132:133], s[14:15], v[120:121]
	;; [unrolled: 1-line block ×8, first 2 shown]
	v_add_f64 v[88:89], v[104:105], v[112:113]
	v_add_f64 v[90:91], v[106:107], v[114:115]
	v_add_co_u32 v124, s2, 0x6000, v96
	v_fma_f64 v[104:105], v[126:127], s[18:19], v[108:109]
	v_fma_f64 v[108:109], v[126:127], s[18:19], v[110:111]
	v_fma_f64 v[112:113], v[116:117], s[18:19], v[120:121]
	v_fma_f64 v[116:117], v[116:117], s[18:19], v[128:129]
	v_fma_f64 v[106:107], v[138:139], s[18:19], v[130:131]
	v_fma_f64 v[114:115], v[118:119], s[18:19], v[132:133]
	v_fma_f64 v[118:119], v[118:119], s[18:19], v[134:135]
	v_fma_f64 v[110:111], v[138:139], s[18:19], v[122:123]
	v_add_co_u32 v120, s0, 0x4650, v96
	v_add_co_u32 v122, s1, 0x4000, v96
	v_add_co_ci_u32_e64 v121, s0, 0, v95, s0
	v_add_co_ci_u32_e64 v123, s0, 0, v95, s1
	v_add_co_u32 v126, s3, 0x7000, v96
	v_add_co_ci_u32_e64 v125, s0, 0, v95, s2
	v_add_co_ci_u32_e64 v127, s0, 0, v95, s3
	ds_store_b128 v94, v[88:91]
	ds_store_b128 v94, v[104:107] offset:3600
	ds_store_b128 v94, v[112:115] offset:7200
	;; [unrolled: 1-line block ×4, first 2 shown]
	s_waitcnt lgkmcnt(0)
	s_barrier
	buffer_gl0_inv
	s_clause 0x4
	global_load_b128 v[88:91], v[122:123], off offset:1616
	global_load_b128 v[104:107], v[120:121], off offset:3600
	;; [unrolled: 1-line block ×5, first 2 shown]
	ds_load_b128 v[120:123], v94
	ds_load_b128 v[124:127], v94 offset:3600
	ds_load_b128 v[128:131], v94 offset:7200
	;; [unrolled: 1-line block ×4, first 2 shown]
	s_waitcnt vmcnt(3) lgkmcnt(3)
	v_mul_f64 v[140:141], v[126:127], v[106:107]
	v_mul_f64 v[106:107], v[124:125], v[106:107]
	;; [unrolled: 1-line block ×4, first 2 shown]
	s_waitcnt vmcnt(2) lgkmcnt(2)
	v_mul_f64 v[142:143], v[130:131], v[110:111]
	v_mul_f64 v[110:111], v[128:129], v[110:111]
	s_waitcnt vmcnt(1) lgkmcnt(1)
	v_mul_f64 v[144:145], v[134:135], v[114:115]
	v_mul_f64 v[114:115], v[132:133], v[114:115]
	;; [unrolled: 3-line block ×3, first 2 shown]
	v_fma_f64 v[118:119], v[120:121], v[88:89], -v[95:96]
	v_fma_f64 v[120:121], v[122:123], v[88:89], v[90:91]
	v_fma_f64 v[88:89], v[124:125], v[104:105], -v[140:141]
	v_fma_f64 v[90:91], v[126:127], v[104:105], v[106:107]
	;; [unrolled: 2-line block ×5, first 2 shown]
	ds_store_b128 v94, v[118:121]
	ds_store_b128 v94, v[88:91] offset:3600
	ds_store_b128 v94, v[104:107] offset:7200
	;; [unrolled: 1-line block ×4, first 2 shown]
	s_waitcnt lgkmcnt(0)
	s_barrier
	buffer_gl0_inv
	ds_load_b128 v[88:91], v94 offset:7200
	ds_load_b128 v[104:107], v94 offset:10800
	;; [unrolled: 1-line block ×4, first 2 shown]
	ds_load_b128 v[116:119], v94
	s_waitcnt lgkmcnt(0)
	s_barrier
	buffer_gl0_inv
	v_add_f64 v[95:96], v[88:89], v[104:105]
	v_add_f64 v[122:123], v[90:91], v[106:107]
	;; [unrolled: 1-line block ×6, first 2 shown]
	v_add_f64 v[128:129], v[110:111], -v[114:115]
	v_add_f64 v[130:131], v[90:91], -v[106:107]
	;; [unrolled: 1-line block ×9, first 2 shown]
	v_fma_f64 v[95:96], v[95:96], -0.5, v[116:117]
	v_fma_f64 v[122:123], v[122:123], -0.5, v[118:119]
	;; [unrolled: 1-line block ×3, first 2 shown]
	v_add_f64 v[120:121], v[88:89], -v[104:105]
	v_fma_f64 v[118:119], v[124:125], -0.5, v[118:119]
	v_add_f64 v[124:125], v[108:109], -v[88:89]
	v_add_f64 v[108:109], v[88:89], -v[108:109]
	v_add_f64 v[88:89], v[126:127], v[88:89]
	v_add_f64 v[90:91], v[132:133], v[90:91]
	;; [unrolled: 1-line block ×3, first 2 shown]
	v_fma_f64 v[126:127], v[128:129], s[12:13], v[95:96]
	v_fma_f64 v[146:147], v[134:135], s[10:11], v[122:123]
	;; [unrolled: 1-line block ×8, first 2 shown]
	v_add_f64 v[88:89], v[88:89], v[104:105]
	v_add_f64 v[90:91], v[90:91], v[106:107]
	;; [unrolled: 1-line block ×5, first 2 shown]
	v_fma_f64 v[104:105], v[130:131], s[14:15], v[126:127]
	v_fma_f64 v[126:127], v[120:121], s[16:17], v[146:147]
	v_fma_f64 v[106:107], v[128:129], s[14:15], v[132:133]
	v_fma_f64 v[116:117], v[128:129], s[16:17], v[116:117]
	v_fma_f64 v[128:129], v[134:135], s[16:17], v[148:149]
	v_fma_f64 v[118:119], v[134:135], s[14:15], v[118:119]
	v_fma_f64 v[95:96], v[130:131], s[16:17], v[95:96]
	v_fma_f64 v[120:121], v[120:121], s[14:15], v[122:123]
	v_add_f64 v[88:89], v[88:89], v[112:113]
	v_add_f64 v[90:91], v[90:91], v[114:115]
	v_fma_f64 v[104:105], v[124:125], s[18:19], v[104:105]
	v_fma_f64 v[112:113], v[136:137], s[18:19], v[106:107]
	;; [unrolled: 1-line block ×8, first 2 shown]
	ds_store_b128 v99, v[88:91]
	ds_store_b128 v99, v[104:107] offset:16
	ds_store_b128 v99, v[112:115] offset:32
	;; [unrolled: 1-line block ×4, first 2 shown]
	s_waitcnt lgkmcnt(0)
	s_barrier
	buffer_gl0_inv
	ds_load_b128 v[88:91], v94 offset:3600
	ds_load_b128 v[104:107], v94 offset:7200
	;; [unrolled: 1-line block ×4, first 2 shown]
	s_waitcnt lgkmcnt(3)
	v_mul_f64 v[95:96], v[34:35], v[90:91]
	s_waitcnt lgkmcnt(2)
	v_mul_f64 v[116:117], v[30:31], v[106:107]
	;; [unrolled: 2-line block ×3, first 2 shown]
	v_mul_f64 v[30:31], v[30:31], v[104:105]
	v_mul_f64 v[26:27], v[26:27], v[108:109]
	;; [unrolled: 1-line block ×3, first 2 shown]
	s_waitcnt lgkmcnt(0)
	v_mul_f64 v[120:121], v[22:23], v[114:115]
	v_mul_f64 v[22:23], v[22:23], v[112:113]
	v_fma_f64 v[88:89], v[32:33], v[88:89], v[95:96]
	v_fma_f64 v[95:96], v[28:29], v[104:105], v[116:117]
	v_fma_f64 v[104:105], v[24:25], v[108:109], v[118:119]
	v_fma_f64 v[28:29], v[28:29], v[106:107], -v[30:31]
	v_fma_f64 v[24:25], v[24:25], v[110:111], -v[26:27]
	;; [unrolled: 1-line block ×3, first 2 shown]
	v_fma_f64 v[34:35], v[20:21], v[112:113], v[120:121]
	v_fma_f64 v[26:27], v[20:21], v[114:115], -v[22:23]
	ds_load_b128 v[20:23], v94
	s_waitcnt lgkmcnt(0)
	s_barrier
	buffer_gl0_inv
	v_add_f64 v[110:111], v[20:21], v[88:89]
	v_add_f64 v[30:31], v[95:96], v[104:105]
	;; [unrolled: 1-line block ×6, first 2 shown]
	v_add_f64 v[112:113], v[32:33], -v[26:27]
	v_add_f64 v[118:119], v[88:89], -v[34:35]
	;; [unrolled: 1-line block ×9, first 2 shown]
	v_fma_f64 v[30:31], v[30:31], -0.5, v[20:21]
	v_fma_f64 v[106:107], v[106:107], -0.5, v[22:23]
	v_add_f64 v[28:29], v[116:117], v[28:29]
	v_fma_f64 v[20:21], v[90:91], -0.5, v[20:21]
	v_add_f64 v[90:91], v[95:96], -v[104:105]
	v_fma_f64 v[22:23], v[108:109], -0.5, v[22:23]
	v_add_f64 v[108:109], v[88:89], -v[95:96]
	v_add_f64 v[88:89], v[95:96], -v[88:89]
	v_add_f64 v[95:96], v[110:111], v[95:96]
	v_fma_f64 v[110:111], v[112:113], s[12:13], v[30:31]
	v_fma_f64 v[30:31], v[112:113], s[10:11], v[30:31]
	;; [unrolled: 1-line block ×8, first 2 shown]
	v_add_f64 v[108:109], v[108:109], v[120:121]
	v_add_f64 v[120:121], v[88:89], v[122:123]
	;; [unrolled: 1-line block ×6, first 2 shown]
	v_fma_f64 v[88:89], v[114:115], s[14:15], v[110:111]
	v_fma_f64 v[30:31], v[114:115], s[16:17], v[30:31]
	;; [unrolled: 1-line block ×8, first 2 shown]
	v_add_f64 v[24:25], v[32:33], v[34:35]
	v_add_f64 v[26:27], v[28:29], v[26:27]
	v_fma_f64 v[32:33], v[108:109], s[18:19], v[88:89]
	v_fma_f64 v[28:29], v[108:109], s[18:19], v[30:31]
	;; [unrolled: 1-line block ×8, first 2 shown]
	ds_store_b128 v100, v[24:27]
	ds_store_b128 v100, v[32:35] offset:80
	ds_store_b128 v100, v[88:91] offset:160
	;; [unrolled: 1-line block ×4, first 2 shown]
	s_waitcnt lgkmcnt(0)
	s_barrier
	buffer_gl0_inv
	ds_load_b128 v[24:27], v94
	ds_load_b128 v[32:35], v94 offset:6000
	ds_load_b128 v[88:91], v94 offset:12000
	s_and_saveexec_b32 s0, vcc_lo
	s_cbranch_execz .LBB0_11
; %bb.10:
	ds_load_b128 v[20:23], v94 offset:3600
	ds_load_b128 v[28:31], v94 offset:9600
	ds_load_b128 v[84:87], v94 offset:15600
.LBB0_11:
	s_or_b32 exec_lo, exec_lo, s0
	s_waitcnt lgkmcnt(1)
	v_mul_f64 v[95:96], v[42:43], v[34:35]
	s_waitcnt lgkmcnt(0)
	v_mul_f64 v[99:100], v[38:39], v[90:91]
	v_mul_f64 v[42:43], v[42:43], v[32:33]
	;; [unrolled: 1-line block ×7, first 2 shown]
	s_mov_b32 s0, 0xe8584caa
	s_mov_b32 s1, 0xbfebb67a
	;; [unrolled: 1-line block ×4, first 2 shown]
	s_barrier
	buffer_gl0_inv
	v_fma_f64 v[32:33], v[40:41], v[32:33], v[95:96]
	v_fma_f64 v[88:89], v[36:37], v[88:89], v[99:100]
	v_fma_f64 v[34:35], v[40:41], v[34:35], -v[42:43]
	v_fma_f64 v[36:37], v[36:37], v[90:91], -v[38:39]
	v_fma_f64 v[28:29], v[48:49], v[28:29], v[104:105]
	v_fma_f64 v[38:39], v[44:45], v[84:85], v[106:107]
	v_fma_f64 v[30:31], v[48:49], v[30:31], -v[50:51]
	v_fma_f64 v[40:41], v[44:45], v[86:87], -v[46:47]
	v_add_f64 v[50:51], v[24:25], v[32:33]
	v_add_f64 v[42:43], v[32:33], v[88:89]
	v_add_f64 v[44:45], v[34:35], v[36:37]
	v_add_f64 v[84:85], v[34:35], -v[36:37]
	v_add_f64 v[46:47], v[28:29], v[38:39]
	v_add_f64 v[34:35], v[26:27], v[34:35]
	;; [unrolled: 1-line block ×5, first 2 shown]
	v_add_f64 v[30:31], v[30:31], -v[40:41]
	v_fma_f64 v[24:25], v[42:43], -0.5, v[24:25]
	v_add_f64 v[42:43], v[32:33], -v[88:89]
	v_fma_f64 v[26:27], v[44:45], -0.5, v[26:27]
	v_add_f64 v[32:33], v[50:51], v[88:89]
	v_fma_f64 v[44:45], v[46:47], -0.5, v[20:21]
	v_add_f64 v[46:47], v[28:29], -v[38:39]
	v_fma_f64 v[48:49], v[48:49], -0.5, v[22:23]
	v_add_f64 v[34:35], v[34:35], v[36:37]
	v_add_f64 v[20:21], v[86:87], v[38:39]
	;; [unrolled: 1-line block ×3, first 2 shown]
	v_fma_f64 v[36:37], v[84:85], s[0:1], v[24:25]
	v_fma_f64 v[40:41], v[84:85], s[2:3], v[24:25]
	;; [unrolled: 1-line block ×8, first 2 shown]
	ds_store_b128 v101, v[32:35]
	ds_store_b128 v101, v[36:39] offset:400
	ds_store_b128 v101, v[40:43] offset:800
	s_and_saveexec_b32 s0, vcc_lo
	s_cbranch_execz .LBB0_13
; %bb.12:
	v_mad_u16 v32, 0x4b, v97, v98
	s_delay_alu instid0(VALU_DEP_1) | instskip(NEXT) | instid1(VALU_DEP_1)
	v_and_b32_e32 v32, 0xffff, v32
	v_lshlrev_b32_e32 v32, 4, v32
	ds_store_b128 v32, v[20:23]
	ds_store_b128 v32, v[24:27] offset:400
	ds_store_b128 v32, v[28:31] offset:800
.LBB0_13:
	s_or_b32 exec_lo, exec_lo, s0
	s_waitcnt lgkmcnt(0)
	s_barrier
	buffer_gl0_inv
	ds_load_b128 v[32:35], v94
	ds_load_b128 v[36:39], v94 offset:6000
	ds_load_b128 v[40:43], v94 offset:12000
	s_and_saveexec_b32 s0, vcc_lo
	s_cbranch_execz .LBB0_15
; %bb.14:
	ds_load_b128 v[20:23], v94 offset:3600
	ds_load_b128 v[24:27], v94 offset:9600
	;; [unrolled: 1-line block ×3, first 2 shown]
.LBB0_15:
	s_or_b32 exec_lo, exec_lo, s0
	s_waitcnt lgkmcnt(1)
	v_mul_f64 v[44:45], v[66:67], v[38:39]
	s_waitcnt lgkmcnt(0)
	v_mul_f64 v[46:47], v[62:63], v[42:43]
	v_mul_f64 v[48:49], v[66:67], v[36:37]
	v_mul_f64 v[50:51], v[62:63], v[40:41]
	s_mov_b32 s0, 0xe8584caa
	s_mov_b32 s1, 0xbfebb67a
	;; [unrolled: 1-line block ×3, first 2 shown]
	s_barrier
	buffer_gl0_inv
	v_fma_f64 v[36:37], v[64:65], v[36:37], v[44:45]
	v_fma_f64 v[40:41], v[60:61], v[40:41], v[46:47]
	v_fma_f64 v[38:39], v[64:65], v[38:39], -v[48:49]
	v_fma_f64 v[42:43], v[60:61], v[42:43], -v[50:51]
	s_delay_alu instid0(VALU_DEP_4) | instskip(NEXT) | instid1(VALU_DEP_4)
	v_add_f64 v[48:49], v[32:33], v[36:37]
	v_add_f64 v[44:45], v[36:37], v[40:41]
	v_add_f64 v[60:61], v[36:37], -v[40:41]
	s_delay_alu instid0(VALU_DEP_4)
	v_add_f64 v[46:47], v[38:39], v[42:43]
	v_add_f64 v[50:51], v[38:39], -v[42:43]
	v_add_f64 v[38:39], v[34:35], v[38:39]
	v_fma_f64 v[44:45], v[44:45], -0.5, v[32:33]
	v_add_f64 v[32:33], v[48:49], v[40:41]
	v_fma_f64 v[46:47], v[46:47], -0.5, v[34:35]
	s_delay_alu instid0(VALU_DEP_4) | instskip(NEXT) | instid1(VALU_DEP_4)
	v_add_f64 v[34:35], v[38:39], v[42:43]
	v_fma_f64 v[36:37], v[50:51], s[0:1], v[44:45]
	v_fma_f64 v[40:41], v[50:51], s[2:3], v[44:45]
	s_delay_alu instid0(VALU_DEP_4)
	v_fma_f64 v[38:39], v[60:61], s[2:3], v[46:47]
	v_fma_f64 v[42:43], v[60:61], s[0:1], v[46:47]
	ds_store_b128 v103, v[32:35]
	ds_store_b128 v103, v[36:39] offset:1200
	ds_store_b128 v103, v[40:43] offset:2400
	s_and_saveexec_b32 s10, vcc_lo
	s_cbranch_execz .LBB0_17
; %bb.16:
	v_mul_f64 v[32:33], v[58:59], v[24:25]
	v_mul_f64 v[34:35], v[54:55], v[28:29]
	;; [unrolled: 1-line block ×4, first 2 shown]
	s_delay_alu instid0(VALU_DEP_4) | instskip(NEXT) | instid1(VALU_DEP_4)
	v_fma_f64 v[26:27], v[56:57], v[26:27], -v[32:33]
	v_fma_f64 v[30:31], v[52:53], v[30:31], -v[34:35]
	s_delay_alu instid0(VALU_DEP_4) | instskip(NEXT) | instid1(VALU_DEP_4)
	v_fma_f64 v[24:25], v[56:57], v[24:25], v[36:37]
	v_fma_f64 v[28:29], v[52:53], v[28:29], v[38:39]
	s_delay_alu instid0(VALU_DEP_4) | instskip(NEXT) | instid1(VALU_DEP_4)
	v_add_f64 v[38:39], v[22:23], v[26:27]
	v_add_f64 v[32:33], v[26:27], v[30:31]
	v_add_f64 v[40:41], v[26:27], -v[30:31]
	s_delay_alu instid0(VALU_DEP_4)
	v_add_f64 v[34:35], v[24:25], v[28:29]
	v_add_f64 v[36:37], v[24:25], -v[28:29]
	v_add_f64 v[24:25], v[20:21], v[24:25]
	v_fma_f64 v[32:33], v[32:33], -0.5, v[22:23]
	v_add_f64 v[22:23], v[38:39], v[30:31]
	v_fma_f64 v[34:35], v[34:35], -0.5, v[20:21]
	s_delay_alu instid0(VALU_DEP_4) | instskip(NEXT) | instid1(VALU_DEP_4)
	v_add_f64 v[20:21], v[24:25], v[28:29]
	v_fma_f64 v[30:31], v[36:37], s[2:3], v[32:33]
	v_fma_f64 v[26:27], v[36:37], s[0:1], v[32:33]
	s_delay_alu instid0(VALU_DEP_4) | instskip(SKIP_2) | instid1(VALU_DEP_1)
	v_fma_f64 v[28:29], v[40:41], s[0:1], v[34:35]
	v_fma_f64 v[24:25], v[40:41], s[2:3], v[34:35]
	v_and_b32_e32 v32, 0xffff, v102
	v_lshlrev_b32_e32 v32, 4, v32
	ds_store_b128 v32, v[20:23]
	ds_store_b128 v32, v[28:31] offset:1200
	ds_store_b128 v32, v[24:27] offset:2400
.LBB0_17:
	s_or_b32 exec_lo, exec_lo, s10
	s_waitcnt lgkmcnt(0)
	s_barrier
	buffer_gl0_inv
	ds_load_b128 v[20:23], v94 offset:3600
	ds_load_b128 v[24:27], v94 offset:7200
	;; [unrolled: 1-line block ×4, first 2 shown]
	s_mov_b32 s0, 0x134454ff
	s_mov_b32 s1, 0xbfee6f0e
	;; [unrolled: 1-line block ×4, first 2 shown]
	s_waitcnt lgkmcnt(3)
	v_mul_f64 v[36:37], v[82:83], v[22:23]
	s_waitcnt lgkmcnt(2)
	v_mul_f64 v[38:39], v[78:79], v[26:27]
	;; [unrolled: 2-line block ×4, first 2 shown]
	v_mul_f64 v[46:47], v[78:79], v[24:25]
	v_mul_f64 v[48:49], v[74:75], v[28:29]
	;; [unrolled: 1-line block ×4, first 2 shown]
	v_fma_f64 v[36:37], v[80:81], v[20:21], v[36:37]
	v_fma_f64 v[24:25], v[76:77], v[24:25], v[38:39]
	;; [unrolled: 1-line block ×4, first 2 shown]
	v_fma_f64 v[26:27], v[76:77], v[26:27], -v[46:47]
	v_fma_f64 v[30:31], v[72:73], v[30:31], -v[48:49]
	;; [unrolled: 1-line block ×4, first 2 shown]
	ds_load_b128 v[20:23], v94
	s_waitcnt lgkmcnt(0)
	v_add_f64 v[48:49], v[20:21], v[36:37]
	v_add_f64 v[40:41], v[24:25], v[28:29]
	;; [unrolled: 1-line block ×3, first 2 shown]
	v_add_f64 v[56:57], v[36:37], -v[32:33]
	v_add_f64 v[44:45], v[26:27], v[30:31]
	v_add_f64 v[54:55], v[22:23], v[38:39]
	;; [unrolled: 1-line block ×3, first 2 shown]
	v_add_f64 v[50:51], v[38:39], -v[34:35]
	v_add_f64 v[52:53], v[26:27], -v[30:31]
	;; [unrolled: 1-line block ×8, first 2 shown]
	v_fma_f64 v[40:41], v[40:41], -0.5, v[20:21]
	v_fma_f64 v[20:21], v[42:43], -0.5, v[20:21]
	v_add_f64 v[42:43], v[24:25], -v[28:29]
	v_fma_f64 v[44:45], v[44:45], -0.5, v[22:23]
	v_add_f64 v[26:27], v[54:55], v[26:27]
	v_fma_f64 v[22:23], v[46:47], -0.5, v[22:23]
	v_add_f64 v[46:47], v[36:37], -v[24:25]
	v_add_f64 v[36:37], v[24:25], -v[36:37]
	v_add_f64 v[24:25], v[48:49], v[24:25]
	v_add_f64 v[38:39], v[38:39], v[66:67]
	v_fma_f64 v[48:49], v[50:51], s[0:1], v[40:41]
	v_fma_f64 v[40:41], v[50:51], s[2:3], v[40:41]
	;; [unrolled: 1-line block ×8, first 2 shown]
	s_mov_b32 s0, 0x4755a5e
	s_mov_b32 s1, 0xbfe2cf23
	;; [unrolled: 1-line block ×4, first 2 shown]
	v_add_f64 v[24:25], v[24:25], v[28:29]
	v_add_f64 v[26:27], v[26:27], v[30:31]
	;; [unrolled: 1-line block ×5, first 2 shown]
	v_fma_f64 v[28:29], v[52:53], s[0:1], v[48:49]
	v_fma_f64 v[30:31], v[52:53], s[2:3], v[40:41]
	;; [unrolled: 1-line block ×8, first 2 shown]
	s_mov_b32 s0, 0x372fe950
	s_mov_b32 s1, 0x3fd3c6ef
	s_mul_i32 s2, s4, 0xe10
	v_add_f64 v[20:21], v[24:25], v[32:33]
	v_add_f64 v[22:23], v[26:27], v[34:35]
	v_fma_f64 v[24:25], v[46:47], s[0:1], v[28:29]
	v_fma_f64 v[28:29], v[46:47], s[0:1], v[30:31]
	v_fma_f64 v[32:33], v[36:37], s[0:1], v[40:41]
	v_fma_f64 v[36:37], v[36:37], s[0:1], v[48:49]
	v_fma_f64 v[26:27], v[58:59], s[0:1], v[50:51]
	v_fma_f64 v[34:35], v[38:39], s[0:1], v[52:53]
	v_fma_f64 v[38:39], v[38:39], s[0:1], v[54:55]
	v_fma_f64 v[30:31], v[58:59], s[0:1], v[42:43]
	s_mov_b32 s0, 0x5a912e32
	s_mov_b32 s1, 0x3f4d208a
	ds_store_b128 v94, v[20:23]
	ds_store_b128 v94, v[24:27] offset:3600
	ds_store_b128 v94, v[32:35] offset:7200
	;; [unrolled: 1-line block ×4, first 2 shown]
	s_waitcnt lgkmcnt(0)
	s_barrier
	buffer_gl0_inv
	ds_load_b128 v[20:23], v94
	ds_load_b128 v[24:27], v94 offset:3600
	ds_load_b128 v[28:31], v94 offset:7200
	;; [unrolled: 1-line block ×4, first 2 shown]
	s_waitcnt lgkmcnt(4)
	v_mul_f64 v[40:41], v[2:3], v[22:23]
	v_mul_f64 v[2:3], v[2:3], v[20:21]
	s_waitcnt lgkmcnt(3)
	v_mul_f64 v[42:43], v[6:7], v[26:27]
	v_mul_f64 v[6:7], v[6:7], v[24:25]
	;; [unrolled: 3-line block ×5, first 2 shown]
	v_fma_f64 v[20:21], v[0:1], v[20:21], v[40:41]
	v_fma_f64 v[2:3], v[0:1], v[22:23], -v[2:3]
	v_fma_f64 v[22:23], v[4:5], v[24:25], v[42:43]
	v_fma_f64 v[6:7], v[4:5], v[26:27], -v[6:7]
	;; [unrolled: 2-line block ×5, first 2 shown]
	v_mad_u64_u32 v[30:31], null, s6, v92, 0
	v_mad_u64_u32 v[32:33], null, s4, v93, 0
	s_delay_alu instid0(VALU_DEP_1) | instskip(NEXT) | instid1(VALU_DEP_1)
	v_dual_mov_b32 v0, v31 :: v_dual_mov_b32 v1, v33
	v_mad_u64_u32 v[4:5], null, s7, v92, v[0:1]
	s_delay_alu instid0(VALU_DEP_1)
	v_mov_b32_e32 v31, v4
	v_mad_u64_u32 v[8:9], null, s5, v93, v[1:2]
	v_mul_f64 v[0:1], v[20:21], s[0:1]
	v_mul_f64 v[2:3], v[2:3], s[0:1]
	;; [unrolled: 1-line block ×6, first 2 shown]
	v_mov_b32_e32 v33, v8
	v_mul_f64 v[8:9], v[24:25], s[0:1]
	v_mul_f64 v[14:15], v[14:15], s[0:1]
	;; [unrolled: 1-line block ×4, first 2 shown]
	v_lshlrev_b64 v[20:21], 4, v[30:31]
	v_lshlrev_b64 v[22:23], 4, v[32:33]
	s_mul_i32 s0, s5, 0xe10
	s_mul_hi_u32 s1, s4, 0xe10
	s_delay_alu instid0(SALU_CYCLE_1) | instskip(NEXT) | instid1(VALU_DEP_2)
	s_add_i32 s1, s1, s0
	v_add_co_u32 v20, vcc_lo, s8, v20
	v_add_co_ci_u32_e32 v21, vcc_lo, s9, v21, vcc_lo
	s_delay_alu instid0(VALU_DEP_2) | instskip(NEXT) | instid1(VALU_DEP_2)
	v_add_co_u32 v20, vcc_lo, v20, v22
	v_add_co_ci_u32_e32 v21, vcc_lo, v21, v23, vcc_lo
	s_delay_alu instid0(VALU_DEP_2) | instskip(NEXT) | instid1(VALU_DEP_2)
	;; [unrolled: 3-line block ×5, first 2 shown]
	v_add_co_u32 v28, vcc_lo, v26, s2
	v_add_co_ci_u32_e32 v29, vcc_lo, s1, v27, vcc_lo
	s_clause 0x4
	global_store_b128 v[20:21], v[0:3], off
	global_store_b128 v[22:23], v[4:7], off
	;; [unrolled: 1-line block ×5, first 2 shown]
.LBB0_18:
	s_nop 0
	s_sendmsg sendmsg(MSG_DEALLOC_VGPRS)
	s_endpgm
	.section	.rodata,"a",@progbits
	.p2align	6, 0x0
	.amdhsa_kernel bluestein_single_fwd_len1125_dim1_dp_op_CI_CI
		.amdhsa_group_segment_fixed_size 18000
		.amdhsa_private_segment_fixed_size 0
		.amdhsa_kernarg_size 104
		.amdhsa_user_sgpr_count 15
		.amdhsa_user_sgpr_dispatch_ptr 0
		.amdhsa_user_sgpr_queue_ptr 0
		.amdhsa_user_sgpr_kernarg_segment_ptr 1
		.amdhsa_user_sgpr_dispatch_id 0
		.amdhsa_user_sgpr_private_segment_size 0
		.amdhsa_wavefront_size32 1
		.amdhsa_uses_dynamic_stack 0
		.amdhsa_enable_private_segment 0
		.amdhsa_system_sgpr_workgroup_id_x 1
		.amdhsa_system_sgpr_workgroup_id_y 0
		.amdhsa_system_sgpr_workgroup_id_z 0
		.amdhsa_system_sgpr_workgroup_info 0
		.amdhsa_system_vgpr_workitem_id 0
		.amdhsa_next_free_vgpr 152
		.amdhsa_next_free_sgpr 20
		.amdhsa_reserve_vcc 1
		.amdhsa_float_round_mode_32 0
		.amdhsa_float_round_mode_16_64 0
		.amdhsa_float_denorm_mode_32 3
		.amdhsa_float_denorm_mode_16_64 3
		.amdhsa_dx10_clamp 1
		.amdhsa_ieee_mode 1
		.amdhsa_fp16_overflow 0
		.amdhsa_workgroup_processor_mode 1
		.amdhsa_memory_ordered 1
		.amdhsa_forward_progress 0
		.amdhsa_shared_vgpr_count 0
		.amdhsa_exception_fp_ieee_invalid_op 0
		.amdhsa_exception_fp_denorm_src 0
		.amdhsa_exception_fp_ieee_div_zero 0
		.amdhsa_exception_fp_ieee_overflow 0
		.amdhsa_exception_fp_ieee_underflow 0
		.amdhsa_exception_fp_ieee_inexact 0
		.amdhsa_exception_int_div_zero 0
	.end_amdhsa_kernel
	.text
.Lfunc_end0:
	.size	bluestein_single_fwd_len1125_dim1_dp_op_CI_CI, .Lfunc_end0-bluestein_single_fwd_len1125_dim1_dp_op_CI_CI
                                        ; -- End function
	.section	.AMDGPU.csdata,"",@progbits
; Kernel info:
; codeLenInByte = 8784
; NumSgprs: 22
; NumVgprs: 152
; ScratchSize: 0
; MemoryBound: 0
; FloatMode: 240
; IeeeMode: 1
; LDSByteSize: 18000 bytes/workgroup (compile time only)
; SGPRBlocks: 2
; VGPRBlocks: 18
; NumSGPRsForWavesPerEU: 22
; NumVGPRsForWavesPerEU: 152
; Occupancy: 9
; WaveLimiterHint : 1
; COMPUTE_PGM_RSRC2:SCRATCH_EN: 0
; COMPUTE_PGM_RSRC2:USER_SGPR: 15
; COMPUTE_PGM_RSRC2:TRAP_HANDLER: 0
; COMPUTE_PGM_RSRC2:TGID_X_EN: 1
; COMPUTE_PGM_RSRC2:TGID_Y_EN: 0
; COMPUTE_PGM_RSRC2:TGID_Z_EN: 0
; COMPUTE_PGM_RSRC2:TIDIG_COMP_CNT: 0
	.text
	.p2alignl 7, 3214868480
	.fill 96, 4, 3214868480
	.type	__hip_cuid_8a0c40ced132be23,@object ; @__hip_cuid_8a0c40ced132be23
	.section	.bss,"aw",@nobits
	.globl	__hip_cuid_8a0c40ced132be23
__hip_cuid_8a0c40ced132be23:
	.byte	0                               ; 0x0
	.size	__hip_cuid_8a0c40ced132be23, 1

	.ident	"AMD clang version 19.0.0git (https://github.com/RadeonOpenCompute/llvm-project roc-6.4.0 25133 c7fe45cf4b819c5991fe208aaa96edf142730f1d)"
	.section	".note.GNU-stack","",@progbits
	.addrsig
	.addrsig_sym __hip_cuid_8a0c40ced132be23
	.amdgpu_metadata
---
amdhsa.kernels:
  - .args:
      - .actual_access:  read_only
        .address_space:  global
        .offset:         0
        .size:           8
        .value_kind:     global_buffer
      - .actual_access:  read_only
        .address_space:  global
        .offset:         8
        .size:           8
        .value_kind:     global_buffer
      - .actual_access:  read_only
        .address_space:  global
        .offset:         16
        .size:           8
        .value_kind:     global_buffer
      - .actual_access:  read_only
        .address_space:  global
        .offset:         24
        .size:           8
        .value_kind:     global_buffer
      - .actual_access:  read_only
        .address_space:  global
        .offset:         32
        .size:           8
        .value_kind:     global_buffer
      - .offset:         40
        .size:           8
        .value_kind:     by_value
      - .address_space:  global
        .offset:         48
        .size:           8
        .value_kind:     global_buffer
      - .address_space:  global
        .offset:         56
        .size:           8
        .value_kind:     global_buffer
      - .address_space:  global
        .offset:         64
        .size:           8
        .value_kind:     global_buffer
      - .address_space:  global
        .offset:         72
        .size:           8
        .value_kind:     global_buffer
      - .offset:         80
        .size:           4
        .value_kind:     by_value
      - .address_space:  global
        .offset:         88
        .size:           8
        .value_kind:     global_buffer
      - .address_space:  global
        .offset:         96
        .size:           8
        .value_kind:     global_buffer
    .group_segment_fixed_size: 18000
    .kernarg_segment_align: 8
    .kernarg_segment_size: 104
    .language:       OpenCL C
    .language_version:
      - 2
      - 0
    .max_flat_workgroup_size: 225
    .name:           bluestein_single_fwd_len1125_dim1_dp_op_CI_CI
    .private_segment_fixed_size: 0
    .sgpr_count:     22
    .sgpr_spill_count: 0
    .symbol:         bluestein_single_fwd_len1125_dim1_dp_op_CI_CI.kd
    .uniform_work_group_size: 1
    .uses_dynamic_stack: false
    .vgpr_count:     152
    .vgpr_spill_count: 0
    .wavefront_size: 32
    .workgroup_processor_mode: 1
amdhsa.target:   amdgcn-amd-amdhsa--gfx1100
amdhsa.version:
  - 1
  - 2
...

	.end_amdgpu_metadata
